;; amdgpu-corpus repo=ROCm/rocFFT kind=compiled arch=gfx950 opt=O3
	.text
	.amdgcn_target "amdgcn-amd-amdhsa--gfx950"
	.amdhsa_code_object_version 6
	.protected	bluestein_single_fwd_len55_dim1_dp_op_CI_CI ; -- Begin function bluestein_single_fwd_len55_dim1_dp_op_CI_CI
	.globl	bluestein_single_fwd_len55_dim1_dp_op_CI_CI
	.p2align	8
	.type	bluestein_single_fwd_len55_dim1_dp_op_CI_CI,@function
bluestein_single_fwd_len55_dim1_dp_op_CI_CI: ; @bluestein_single_fwd_len55_dim1_dp_op_CI_CI
; %bb.0:
	s_load_dwordx4 s[16:19], s[0:1], 0x28
	v_mul_u32_u24_e32 v1, 0x1746, v0
	v_lshrrev_b32_e32 v2, 16, v1
	v_mad_u64_u32 v[104:105], s[2:3], s2, 23, v[2:3]
	v_mov_b32_e32 v107, 0
	v_mov_b32_e32 v105, v107
	s_waitcnt lgkmcnt(0)
	v_cmp_gt_u64_e32 vcc, s[16:17], v[104:105]
	s_and_saveexec_b64 s[2:3], vcc
	s_cbranch_execz .LBB0_10
; %bb.1:
	s_load_dwordx4 s[4:7], s[0:1], 0x18
	s_load_dwordx4 s[8:11], s[0:1], 0x0
	v_mul_lo_u16_e32 v1, 11, v2
	v_sub_u16_e32 v105, v0, v1
	v_mov_b32_e32 v4, s18
	s_waitcnt lgkmcnt(0)
	s_load_dwordx4 s[12:15], s[4:5], 0x0
	v_mov_b32_e32 v5, s19
	v_lshlrev_b32_e32 v106, 4, v105
	global_load_dwordx4 v[44:47], v106, s[8:9]
	s_mov_b32 s17, 0xbfee6f0e
	s_waitcnt lgkmcnt(0)
	v_mad_u64_u32 v[0:1], s[2:3], s14, v104, 0
	v_mov_b32_e32 v2, v1
	v_mad_u64_u32 v[2:3], s[2:3], s15, v104, v[2:3]
	v_mov_b32_e32 v1, v2
	;; [unrolled: 2-line block ×4, first 2 shown]
	v_lshl_add_u64 v[0:1], v[0:1], 4, v[4:5]
	v_lshl_add_u64 v[0:1], v[2:3], 4, v[0:1]
	v_mov_b32_e32 v2, 0xb0
	global_load_dwordx4 v[20:23], v[0:1], off
	v_mad_u64_u32 v[0:1], s[2:3], s12, v2, v[0:1]
	s_mul_i32 s4, s13, 0xb0
	v_add_u32_e32 v1, s4, v1
	global_load_dwordx4 v[24:27], v[0:1], off
	global_load_dwordx4 v[10:13], v106, s[8:9] offset:176
	v_mad_u64_u32 v[4:5], s[2:3], s12, v2, v[0:1]
	v_add_u32_e32 v5, s4, v5
	global_load_dwordx4 v[6:9], v106, s[8:9] offset:352
	global_load_dwordx4 v[28:31], v[4:5], off
	v_mad_u64_u32 v[4:5], s[2:3], s12, v2, v[4:5]
	v_add_u32_e32 v5, s4, v5
	global_load_dwordx4 v[32:35], v[4:5], off
	global_load_dwordx4 v[14:17], v106, s[8:9] offset:528
	v_mad_u64_u32 v[40:41], s[2:3], s12, v2, v[4:5]
	v_add_u32_e32 v41, s4, v41
	global_load_dwordx4 v[2:5], v106, s[8:9] offset:704
	global_load_dwordx4 v[36:39], v[40:41], off
	s_mov_b32 s2, 0xb21642c9
	v_mul_hi_u32 v0, v104, s2
	v_lshrrev_b32_e32 v0, 4, v0
	v_mul_lo_u32 v0, v0, 23
	v_sub_u32_e32 v0, v104, v0
	v_mul_u32_u24_e32 v0, 55, v0
	v_lshlrev_b32_e32 v236, 4, v0
	v_add_u32_e32 v234, v106, v236
	s_load_dwordx4 s[4:7], s[6:7], 0x0
	s_mov_b32 s2, 0x134454ff
	s_mov_b32 s3, 0x3fee6f0e
	;; [unrolled: 1-line block ×8, first 2 shown]
	s_load_dwordx2 s[0:1], s[0:1], 0x38
	s_mov_b32 s15, 0x3fd3c6ef
	v_mul_lo_u16_e32 v0, 5, v105
	v_lshl_add_u32 v235, v0, 4, v236
	v_cmp_gt_u16_e32 vcc, 5, v105
                                        ; implicit-def: $vgpr84_vgpr85
                                        ; implicit-def: $vgpr88_vgpr89
                                        ; implicit-def: $vgpr92_vgpr93
                                        ; implicit-def: $vgpr96_vgpr97
                                        ; implicit-def: $vgpr100_vgpr101
	s_waitcnt vmcnt(9)
	v_accvgpr_write_b32 a16, v44
	v_accvgpr_write_b32 a17, v45
	;; [unrolled: 1-line block ×4, first 2 shown]
	s_waitcnt vmcnt(8)
	v_mul_f64 v[40:41], v[22:23], v[46:47]
	v_mul_f64 v[42:43], v[20:21], v[46:47]
	v_fmac_f64_e32 v[40:41], v[20:21], v[44:45]
	v_fma_f64 v[42:43], v[22:23], v[44:45], -v[42:43]
	ds_write_b128 v234, v[40:43]
	s_waitcnt vmcnt(6)
	v_mul_f64 v[20:21], v[26:27], v[12:13]
	v_mul_f64 v[22:23], v[24:25], v[12:13]
	v_fmac_f64_e32 v[20:21], v[24:25], v[10:11]
	v_fma_f64 v[22:23], v[26:27], v[10:11], -v[22:23]
	ds_write_b128 v234, v[20:23] offset:176
	s_waitcnt vmcnt(4)
	v_mul_f64 v[20:21], v[30:31], v[8:9]
	v_mul_f64 v[22:23], v[28:29], v[8:9]
	v_fmac_f64_e32 v[20:21], v[28:29], v[6:7]
	v_fma_f64 v[22:23], v[30:31], v[6:7], -v[22:23]
	ds_write_b128 v234, v[20:23] offset:352
	;; [unrolled: 6-line block ×4, first 2 shown]
	s_waitcnt lgkmcnt(0)
	s_barrier
	ds_read_b128 v[64:67], v234
	ds_read_b128 v[20:23], v234 offset:176
	ds_read_b128 v[24:27], v234 offset:352
	;; [unrolled: 1-line block ×4, first 2 shown]
	v_accvgpr_write_b32 a8, v10
	s_waitcnt lgkmcnt(3)
	v_add_f64 v[36:37], v[64:65], v[20:21]
	s_waitcnt lgkmcnt(2)
	v_add_f64 v[42:43], v[20:21], -v[24:25]
	s_waitcnt lgkmcnt(1)
	v_add_f64 v[38:39], v[24:25], v[28:29]
	s_waitcnt lgkmcnt(0)
	v_add_f64 v[58:59], v[20:21], v[32:33]
	v_add_f64 v[40:41], v[26:27], -v[30:31]
	v_add_f64 v[44:45], v[24:25], -v[20:21]
	;; [unrolled: 1-line block ×3, first 2 shown]
	v_add_f64 v[24:25], v[36:37], v[24:25]
	v_fma_f64 v[76:77], -0.5, v[38:39], v[64:65]
	v_fmac_f64_e32 v[64:65], -0.5, v[58:59]
	v_add_f64 v[46:47], v[66:67], v[22:23]
	v_add_f64 v[48:49], v[26:27], v[30:31]
	v_add_f64 v[52:53], v[22:23], -v[26:27]
	v_add_f64 v[54:55], v[26:27], -v[22:23]
	;; [unrolled: 1-line block ×3, first 2 shown]
	v_add_f64 v[22:23], v[22:23], v[34:35]
	v_add_f64 v[60:61], v[32:33], -v[28:29]
	v_add_f64 v[70:71], v[28:29], -v[32:33]
	v_add_f64 v[24:25], v[24:25], v[28:29]
	v_fma_f64 v[72:73], s[16:17], v[40:41], v[64:65]
	v_fmac_f64_e32 v[64:65], s[2:3], v[40:41]
	v_add_f64 v[20:21], v[20:21], -v[32:33]
	v_add_f64 v[74:75], v[34:35], -v[30:31]
	v_add_f64 v[36:37], v[42:43], v[60:61]
	v_add_f64 v[60:61], v[24:25], v[32:33]
	;; [unrolled: 1-line block ×3, first 2 shown]
	v_fmac_f64_e32 v[72:73], s[12:13], v[56:57]
	v_fmac_f64_e32 v[64:65], s[18:19], v[56:57]
	v_fma_f64 v[78:79], -0.5, v[48:49], v[66:67]
	v_fmac_f64_e32 v[66:67], -0.5, v[22:23]
	v_add_f64 v[80:81], v[30:31], -v[34:35]
	v_add_f64 v[26:27], v[46:47], v[26:27]
	v_fma_f64 v[68:69], s[2:3], v[56:57], v[76:77]
	v_fmac_f64_e32 v[76:77], s[16:17], v[56:57]
	v_fmac_f64_e32 v[72:73], s[14:15], v[24:25]
	;; [unrolled: 1-line block ×3, first 2 shown]
	v_add_f64 v[24:25], v[52:53], v[74:75]
	v_fma_f64 v[70:71], s[16:17], v[20:21], v[78:79]
	v_fmac_f64_e32 v[78:79], s[2:3], v[20:21]
	v_fma_f64 v[74:75], s[2:3], v[50:51], v[66:67]
	v_fmac_f64_e32 v[66:67], s[16:17], v[50:51]
	v_accvgpr_write_b32 a0, v6
	v_accvgpr_write_b32 a12, v14
	;; [unrolled: 1-line block ×3, first 2 shown]
	v_add_f64 v[26:27], v[26:27], v[30:31]
	v_fmac_f64_e32 v[68:69], s[12:13], v[40:41]
	v_fmac_f64_e32 v[76:77], s[18:19], v[40:41]
	;; [unrolled: 1-line block ×5, first 2 shown]
	v_add_f64 v[22:23], v[54:55], v[80:81]
	v_fmac_f64_e32 v[66:67], s[12:13], v[20:21]
	v_accvgpr_write_b32 a9, v11
	v_accvgpr_write_b32 a10, v12
	;; [unrolled: 1-line block ×12, first 2 shown]
	v_add_f64 v[62:63], v[26:27], v[34:35]
	v_fmac_f64_e32 v[68:69], s[14:15], v[36:37]
	v_fmac_f64_e32 v[76:77], s[14:15], v[36:37]
	;; [unrolled: 1-line block ×6, first 2 shown]
	s_barrier
	ds_write_b128 v235, v[60:63]
	ds_write_b128 v235, v[68:71] offset:16
	ds_write_b128 v235, v[72:75] offset:32
	;; [unrolled: 1-line block ×4, first 2 shown]
	s_waitcnt lgkmcnt(0)
	s_barrier
	s_waitcnt lgkmcnt(0)
                                        ; implicit-def: $vgpr80_vgpr81
	s_and_saveexec_b64 s[2:3], vcc
	s_cbranch_execz .LBB0_3
; %bb.2:
	ds_read_b128 v[60:63], v234
	ds_read_b128 v[68:71], v234 offset:80
	ds_read_b128 v[72:75], v234 offset:160
	;; [unrolled: 1-line block ×10, first 2 shown]
.LBB0_3:
	s_or_b64 exec, exec, s[2:3]
	s_movk_i32 s2, 0xcd
	v_mul_lo_u16_sdwa v0, v105, s2 dst_sel:DWORD dst_unused:UNUSED_PAD src0_sel:BYTE_0 src1_sel:DWORD
	v_lshrrev_b16_e32 v0, 10, v0
	v_mul_lo_u16_e32 v0, 5, v0
	v_sub_u16_e32 v0, v105, v0
	v_mul_lo_u16_e32 v0, 10, v0
	v_and_b32_e32 v0, 0xfe, v0
	v_lshlrev_b32_e32 v0, 4, v0
	global_load_dwordx4 v[20:23], v0, s[10:11]
	global_load_dwordx4 v[24:27], v0, s[10:11] offset:16
	global_load_dwordx4 v[28:31], v0, s[10:11] offset:32
	;; [unrolled: 1-line block ×9, first 2 shown]
	s_mov_b32 s14, 0xf8bb580b
	s_mov_b32 s2, 0x8764f0ba
	;; [unrolled: 1-line block ×26, first 2 shown]
	s_waitcnt vmcnt(9) lgkmcnt(9)
	v_mul_f64 v[122:123], v[70:71], v[22:23]
	v_mul_f64 v[108:109], v[68:69], v[22:23]
	s_waitcnt vmcnt(8) lgkmcnt(8)
	v_mul_f64 v[126:127], v[74:75], v[26:27]
	v_mul_f64 v[110:111], v[72:73], v[26:27]
	s_waitcnt vmcnt(5) lgkmcnt(5)
	v_mul_f64 v[116:117], v[80:81], v[50:51]
	s_waitcnt vmcnt(4) lgkmcnt(4)
	;; [unrolled: 2-line block ×4, first 2 shown]
	v_mul_f64 v[124:125], v[92:93], v[46:47]
	v_mul_f64 v[142:143], v[94:95], v[46:47]
	s_waitcnt vmcnt(0) lgkmcnt(0)
	v_mul_f64 v[146:147], v[102:103], v[38:39]
	v_mul_f64 v[132:133], v[100:101], v[38:39]
	;; [unrolled: 1-line block ×4, first 2 shown]
	v_fma_f64 v[0:1], v[68:69], v[20:21], -v[122:123]
	v_fmac_f64_e32 v[108:109], v[70:71], v[20:21]
	v_fmac_f64_e32 v[124:125], v[94:95], v[44:45]
	v_fma_f64 v[94:95], v[100:101], v[36:37], -v[146:147]
	v_fmac_f64_e32 v[132:133], v[102:103], v[36:37]
	v_mul_f64 v[130:131], v[66:67], v[30:31]
	v_mul_f64 v[112:113], v[64:65], v[30:31]
	;; [unrolled: 1-line block ×5, first 2 shown]
	v_fma_f64 v[2:3], v[72:73], v[24:25], -v[126:127]
	v_fmac_f64_e32 v[110:111], v[74:75], v[24:25]
	v_fmac_f64_e32 v[116:117], v[82:83], v[48:49]
	;; [unrolled: 1-line block ×3, first 2 shown]
	v_fma_f64 v[16:17], v[88:89], v[52:53], -v[140:141]
	v_fma_f64 v[88:89], v[92:93], v[44:45], -v[142:143]
	;; [unrolled: 1-line block ×3, first 2 shown]
	v_fmac_f64_e32 v[128:129], v[98:99], v[40:41]
	v_add_f64 v[86:87], v[108:109], -v[132:133]
	v_add_f64 v[82:83], v[0:1], -v[94:95]
	v_mul_f64 v[114:115], v[76:77], v[34:35]
	v_fma_f64 v[4:5], v[64:65], v[28:29], -v[130:131]
	v_fmac_f64_e32 v[112:113], v[66:67], v[28:29]
	v_fma_f64 v[8:9], v[80:81], v[48:49], -v[136:137]
	v_fma_f64 v[12:13], v[84:85], v[56:57], -v[138:139]
	v_fmac_f64_e32 v[120:121], v[90:91], v[52:53]
	v_add_f64 v[150:151], v[0:1], v[94:95]
	v_add_f64 v[84:85], v[110:111], -v[128:129]
	v_add_f64 v[152:153], v[108:109], v[132:133]
	v_add_f64 v[80:81], v[2:3], -v[92:93]
	v_mul_f64 v[138:139], v[86:87], s[14:15]
	v_mul_f64 v[90:91], v[82:83], s[14:15]
	;; [unrolled: 1-line block ×3, first 2 shown]
	v_fmac_f64_e32 v[114:115], v[78:79], v[32:33]
	v_add_f64 v[146:147], v[2:3], v[92:93]
	v_add_f64 v[148:149], v[110:111], v[128:129]
	v_add_f64 v[164:165], v[112:113], -v[124:125]
	v_mul_f64 v[14:15], v[84:85], s[12:13]
	v_mul_f64 v[96:97], v[80:81], s[12:13]
	v_fma_f64 v[64:65], s[2:3], v[150:151], v[138:139]
	v_fma_f64 v[68:69], v[152:153], s[2:3], -v[90:91]
	v_add_f64 v[238:239], v[4:5], -v[88:89]
	v_fma_f64 v[6:7], v[76:77], v[32:33], -v[134:135]
	v_add_f64 v[156:157], v[4:5], v[88:89]
	v_add_f64 v[158:159], v[112:113], v[124:125]
	v_mul_f64 v[18:19], v[164:165], s[18:19]
	v_fma_f64 v[66:67], s[10:11], v[146:147], v[14:15]
	v_fma_f64 v[70:71], v[148:149], s[10:11], -v[96:97]
	v_add_f64 v[64:65], v[60:61], v[64:65]
	v_add_f64 v[68:69], v[62:63], v[68:69]
	v_mul_f64 v[144:145], v[238:239], s[18:19]
	v_add_f64 v[240:241], v[114:115], -v[120:121]
	v_fma_f64 v[72:73], s[16:17], v[156:157], v[18:19]
	v_add_f64 v[64:65], v[66:67], v[64:65]
	v_add_f64 v[66:67], v[70:71], v[68:69]
	v_fma_f64 v[68:69], v[158:159], s[16:17], -v[144:145]
	v_add_f64 v[172:173], v[6:7], v[16:17]
	v_mul_f64 v[100:101], v[240:241], s[24:25]
	v_add_f64 v[242:243], v[6:7], -v[16:17]
	v_add_f64 v[64:65], v[72:73], v[64:65]
	v_add_f64 v[66:67], v[68:69], v[66:67]
	v_fma_f64 v[68:69], s[20:21], v[172:173], v[100:101]
	v_add_f64 v[178:179], v[114:115], v[120:121]
	v_mul_f64 v[154:155], v[242:243], s[24:25]
	v_add_f64 v[244:245], v[116:117], -v[118:119]
	v_add_f64 v[64:65], v[68:69], v[64:65]
	v_fma_f64 v[68:69], v[178:179], s[20:21], -v[154:155]
	v_add_f64 v[190:191], v[8:9], v[12:13]
	v_mul_f64 v[160:161], v[244:245], s[26:27]
	v_add_f64 v[246:247], v[8:9], -v[12:13]
	v_add_f64 v[66:67], v[68:69], v[66:67]
	v_fma_f64 v[68:69], s[22:23], v[190:191], v[160:161]
	v_add_f64 v[192:193], v[116:117], v[118:119]
	v_mul_f64 v[162:163], v[246:247], s[26:27]
	v_add_f64 v[64:65], v[68:69], v[64:65]
	v_fma_f64 v[68:69], v[192:193], s[22:23], -v[162:163]
	v_mul_f64 v[166:167], v[86:87], s[12:13]
	v_add_f64 v[66:67], v[68:69], v[66:67]
	v_fma_f64 v[68:69], s[10:11], v[150:151], v[166:167]
	v_mul_f64 v[168:169], v[84:85], s[24:25]
	v_add_f64 v[68:69], v[60:61], v[68:69]
	v_fma_f64 v[70:71], s[20:21], v[146:147], v[168:169]
	v_mul_f64 v[174:175], v[82:83], s[12:13]
	v_add_f64 v[68:69], v[70:71], v[68:69]
	v_fma_f64 v[70:71], v[152:153], s[10:11], -v[174:175]
	v_mul_f64 v[176:177], v[80:81], s[24:25]
	v_add_f64 v[70:71], v[62:63], v[70:71]
	v_fma_f64 v[72:73], v[148:149], s[20:21], -v[176:177]
	v_mul_f64 v[170:171], v[164:165], s[28:29]
	v_add_f64 v[70:71], v[72:73], v[70:71]
	v_fma_f64 v[72:73], s[22:23], v[156:157], v[170:171]
	v_mul_f64 v[182:183], v[238:239], s[28:29]
	v_add_f64 v[68:69], v[72:73], v[68:69]
	v_fma_f64 v[72:73], v[158:159], s[22:23], -v[182:183]
	v_mul_f64 v[180:181], v[240:241], s[30:31]
	v_add_f64 v[70:71], v[72:73], v[70:71]
	v_fma_f64 v[72:73], s[16:17], v[172:173], v[180:181]
	;; [unrolled: 6-line block ×4, first 2 shown]
	v_mul_f64 v[196:197], v[84:85], s[28:29]
	v_add_f64 v[72:73], v[60:61], v[72:73]
	v_fma_f64 v[74:75], s[22:23], v[146:147], v[196:197]
	v_mul_f64 v[200:201], v[82:83], s[18:19]
	v_add_f64 v[72:73], v[74:75], v[72:73]
	v_fma_f64 v[74:75], v[152:153], s[16:17], -v[200:201]
	v_mul_f64 v[202:203], v[80:81], s[28:29]
	s_mov_b32 s13, 0x3fed1bb4
	v_add_f64 v[74:75], v[62:63], v[74:75]
	v_fma_f64 v[76:77], v[148:149], s[22:23], -v[202:203]
	v_mul_f64 v[198:199], v[164:165], s[12:13]
	v_add_f64 v[74:75], v[76:77], v[74:75]
	v_fma_f64 v[76:77], s[10:11], v[156:157], v[198:199]
	v_mul_f64 v[208:209], v[238:239], s[12:13]
	v_add_f64 v[72:73], v[76:77], v[72:73]
	v_fma_f64 v[76:77], v[158:159], s[10:11], -v[208:209]
	v_mul_f64 v[204:205], v[240:241], s[14:15]
	v_add_f64 v[74:75], v[76:77], v[74:75]
	v_fma_f64 v[76:77], s[2:3], v[172:173], v[204:205]
	v_mul_f64 v[210:211], v[242:243], s[14:15]
	;; [unrolled: 6-line block ×4, first 2 shown]
	v_add_f64 v[76:77], v[60:61], v[76:77]
	v_fma_f64 v[78:79], s[16:17], v[146:147], v[216:217]
	v_mul_f64 v[220:221], v[82:83], s[24:25]
	v_add_f64 v[76:77], v[78:79], v[76:77]
	v_fma_f64 v[78:79], v[152:153], s[20:21], -v[220:221]
	v_mul_f64 v[224:225], v[80:81], s[30:31]
	v_add_f64 v[78:79], v[62:63], v[78:79]
	v_fma_f64 v[218:219], v[148:149], s[16:17], -v[224:225]
	v_add_f64 v[78:79], v[218:219], v[78:79]
	v_mul_f64 v[218:219], v[164:165], s[14:15]
	v_fma_f64 v[222:223], s[2:3], v[156:157], v[218:219]
	v_mul_f64 v[228:229], v[238:239], s[14:15]
	v_add_f64 v[76:77], v[222:223], v[76:77]
	v_fma_f64 v[222:223], v[158:159], s[2:3], -v[228:229]
	v_add_f64 v[78:79], v[222:223], v[78:79]
	v_mul_f64 v[222:223], v[240:241], s[26:27]
	v_fma_f64 v[226:227], s[22:23], v[172:173], v[222:223]
	;; [unrolled: 6-line block ×3, first 2 shown]
	v_add_f64 v[76:77], v[232:233], v[76:77]
	v_mul_f64 v[232:233], v[246:247], s[12:13]
	v_fma_f64 v[248:249], v[192:193], s[10:11], -v[232:233]
	v_mul_f64 v[86:87], v[86:87], s[26:27]
	v_add_f64 v[78:79], v[248:249], v[78:79]
	v_fma_f64 v[248:249], v[150:151], s[22:23], -v[86:87]
	v_mul_f64 v[84:85], v[84:85], s[34:35]
	v_add_f64 v[248:249], v[60:61], v[248:249]
	v_fma_f64 v[250:251], v[146:147], s[2:3], -v[84:85]
	v_add_f64 v[248:249], v[250:251], v[248:249]
	v_mul_f64 v[250:251], v[82:83], s[26:27]
	v_fma_f64 v[82:83], s[22:23], v[152:153], v[250:251]
	v_mul_f64 v[252:253], v[80:81], s[34:35]
	v_add_f64 v[82:83], v[62:63], v[82:83]
	v_fma_f64 v[80:81], s[2:3], v[148:149], v[252:253]
	v_mul_f64 v[164:165], v[164:165], s[24:25]
	v_add_f64 v[80:81], v[80:81], v[82:83]
	v_fma_f64 v[82:83], v[156:157], s[20:21], -v[164:165]
	v_mul_f64 v[238:239], v[238:239], s[24:25]
	v_add_f64 v[82:83], v[82:83], v[248:249]
	v_fma_f64 v[248:249], s[20:21], v[158:159], v[238:239]
	v_mul_f64 v[240:241], v[240:241], s[12:13]
	v_add_f64 v[80:81], v[248:249], v[80:81]
	v_fma_f64 v[248:249], v[172:173], s[10:11], -v[240:241]
	v_mul_f64 v[242:243], v[242:243], s[12:13]
	v_add_f64 v[82:83], v[248:249], v[82:83]
	v_fma_f64 v[248:249], s[10:11], v[178:179], v[242:243]
	v_mul_f64 v[244:245], v[244:245], s[18:19]
	v_fmac_f64_e32 v[86:87], s[22:23], v[150:151]
	v_add_f64 v[248:249], v[248:249], v[80:81]
	v_fma_f64 v[80:81], v[190:191], s[16:17], -v[244:245]
	v_mul_f64 v[246:247], v[246:247], s[18:19]
	v_add_f64 v[86:87], v[60:61], v[86:87]
	v_fmac_f64_e32 v[84:85], s[2:3], v[146:147]
	v_add_f64 v[80:81], v[80:81], v[82:83]
	v_fma_f64 v[82:83], s[16:17], v[192:193], v[246:247]
	v_add_f64 v[84:85], v[84:85], v[86:87]
	v_fma_f64 v[86:87], v[152:153], s[22:23], -v[250:251]
	v_add_f64 v[82:83], v[82:83], v[248:249]
	v_add_f64 v[86:87], v[62:63], v[86:87]
	v_fma_f64 v[248:249], v[148:149], s[2:3], -v[252:253]
	v_fmac_f64_e32 v[164:165], s[20:21], v[156:157]
	v_add_f64 v[86:87], v[248:249], v[86:87]
	v_add_f64 v[84:85], v[164:165], v[84:85]
	v_fma_f64 v[164:165], v[158:159], s[20:21], -v[238:239]
	v_add_f64 v[86:87], v[164:165], v[86:87]
	v_fmac_f64_e32 v[240:241], s[10:11], v[172:173]
	v_fma_f64 v[164:165], v[178:179], s[10:11], -v[242:243]
	v_add_f64 v[84:85], v[240:241], v[84:85]
	v_add_f64 v[86:87], v[164:165], v[86:87]
	v_fmac_f64_e32 v[244:245], s[16:17], v[190:191]
	v_fma_f64 v[164:165], v[192:193], s[16:17], -v[246:247]
	v_add_f64 v[84:85], v[244:245], v[84:85]
	v_add_f64 v[86:87], v[164:165], v[86:87]
	v_lshl_add_u64 v[164:165], s[8:9], 0, v[106:107]
	s_and_saveexec_b64 s[12:13], vcc
	s_cbranch_execz .LBB0_5
; %bb.4:
	v_mul_f64 v[102:103], v[150:151], s[2:3]
	v_mul_f64 v[242:243], v[150:151], s[10:11]
	;; [unrolled: 1-line block ×8, first 2 shown]
	v_accvgpr_write_b32 a29, v7
	v_add_f64 v[150:151], v[150:151], -v[214:215]
	v_accvgpr_write_b32 a28, v6
	v_mul_f64 v[6:7], v[156:157], s[2:3]
	v_accvgpr_write_b32 a38, v92
	v_add_f64 v[146:147], v[146:147], -v[216:217]
	v_add_f64 v[150:151], v[60:61], v[150:151]
	v_accvgpr_write_b32 a39, v93
	v_mov_b64_e32 v[92:93], v[18:19]
	v_mul_f64 v[18:19], v[172:173], s[22:23]
	v_add_f64 v[6:7], v[6:7], -v[218:219]
	v_add_f64 v[146:147], v[146:147], v[150:151]
	v_mul_f64 v[248:249], v[152:153], s[16:17]
	v_mov_b32_e32 v107, v236
	v_mov_b64_e32 v[236:237], v[100:101]
	v_mul_f64 v[100:101], v[148:149], s[22:23]
	v_add_f64 v[18:19], v[18:19], -v[222:223]
	v_add_f64 v[6:7], v[6:7], v[146:147]
	v_accvgpr_write_b32 a27, v5
	v_add_f64 v[6:7], v[18:19], v[6:7]
	v_add_f64 v[18:19], v[202:203], v[100:101]
	;; [unrolled: 1-line block ×3, first 2 shown]
	v_mul_f64 v[240:241], v[152:153], s[2:3]
	v_mul_f64 v[244:245], v[152:153], s[10:11]
	;; [unrolled: 1-line block ×3, first 2 shown]
	v_accvgpr_write_b32 a20, v94
	v_accvgpr_write_b32 a26, v4
	v_mul_f64 v[4:5], v[158:159], s[10:11]
	v_add_f64 v[100:101], v[62:63], v[100:101]
	v_accvgpr_write_b32 a34, v102
	v_mul_f64 v[252:253], v[148:149], s[10:11]
	v_accvgpr_write_b32 a21, v95
	v_mov_b64_e32 v[94:95], v[96:97]
	v_mul_f64 v[96:97], v[148:149], s[20:21]
	v_mul_f64 v[148:149], v[148:149], s[16:17]
	v_accvgpr_write_b32 a23, v1
	v_accvgpr_write_b32 a25, v3
	;; [unrolled: 1-line block ×5, first 2 shown]
	v_mov_b64_e32 v[238:239], v[16:17]
	v_mul_f64 v[16:17], v[178:179], s[2:3]
	v_add_f64 v[152:153], v[220:221], v[152:153]
	v_add_f64 v[4:5], v[208:209], v[4:5]
	v_add_f64 v[18:19], v[18:19], v[100:101]
	v_accvgpr_write_b32 a35, v103
	v_mul_f64 v[140:141], v[156:157], s[16:17]
	v_mul_f64 v[102:103], v[158:159], s[16:17]
	;; [unrolled: 1-line block ×3, first 2 shown]
	v_accvgpr_write_b32 a22, v0
	v_mul_f64 v[0:1], v[158:159], s[22:23]
	v_accvgpr_write_b32 a24, v2
	v_mul_f64 v[2:3], v[156:157], s[10:11]
	v_mul_f64 v[156:157], v[158:159], s[2:3]
	v_accvgpr_write_b32 a32, v8
	v_mul_f64 v[8:9], v[172:173], s[20:21]
	v_mul_f64 v[10:11], v[178:179], s[20:21]
	v_accvgpr_write_b32 a36, v12
	v_mul_f64 v[12:13], v[172:173], s[16:17]
	v_accvgpr_write_b32 a31, v89
	v_mov_b64_e32 v[88:89], v[14:15]
	v_mul_f64 v[14:15], v[178:179], s[16:17]
	v_mul_f64 v[158:159], v[172:173], s[2:3]
	;; [unrolled: 1-line block ×7, first 2 shown]
	v_add_f64 v[148:149], v[224:225], v[148:149]
	v_add_f64 v[152:153], v[62:63], v[152:153]
	;; [unrolled: 1-line block ×4, first 2 shown]
	v_add_f64 v[18:19], v[246:247], -v[194:195]
	v_mul_f64 v[136:137], v[192:193], s[20:21]
	v_add_f64 v[148:149], v[148:149], v[152:153]
	v_add_f64 v[152:153], v[190:191], -v[226:227]
	v_add_f64 v[4:5], v[16:17], v[4:5]
	v_add_f64 v[16:17], v[98:99], -v[196:197]
	v_add_f64 v[18:19], v[60:61], v[18:19]
	v_add_f64 v[146:147], v[152:153], v[6:7]
	;; [unrolled: 1-line block ×3, first 2 shown]
	v_add_f64 v[2:3], v[2:3], -v[198:199]
	v_add_f64 v[16:17], v[16:17], v[18:19]
	v_add_f64 v[152:153], v[6:7], v[4:5]
	v_add_f64 v[6:7], v[158:159], -v[204:205]
	v_add_f64 v[2:3], v[2:3], v[16:17]
	v_add_f64 v[4:5], v[134:135], -v[206:207]
	v_add_f64 v[2:3], v[6:7], v[2:3]
	v_add_f64 v[150:151], v[4:5], v[2:3]
	;; [unrolled: 1-line block ×8, first 2 shown]
	v_mul_f64 v[130:131], v[192:193], s[2:3]
	v_add_f64 v[0:1], v[0:1], v[6:7]
	v_add_f64 v[2:3], v[188:189], v[130:131]
	;; [unrolled: 1-line block ×4, first 2 shown]
	v_add_f64 v[2:3], v[12:13], -v[180:181]
	v_add_f64 v[12:13], v[242:243], -v[166:167]
	;; [unrolled: 1-line block ×3, first 2 shown]
	v_add_f64 v[12:13], v[60:61], v[12:13]
	v_add_f64 v[4:5], v[142:143], -v[170:171]
	v_add_f64 v[6:7], v[6:7], v[12:13]
	v_add_f64 v[4:5], v[4:5], v[6:7]
	;; [unrolled: 1-line block ×3, first 2 shown]
	v_add_f64 v[0:1], v[126:127], -v[184:185]
	v_add_f64 v[2:3], v[2:3], v[4:5]
	v_add_f64 v[148:149], v[156:157], v[148:149]
	;; [unrolled: 1-line block ×9, first 2 shown]
	v_mul_f64 v[122:123], v[192:193], s[22:23]
	v_add_f64 v[4:5], v[4:5], v[6:7]
	v_add_f64 v[0:1], v[162:163], v[122:123]
	;; [unrolled: 1-line block ×4, first 2 shown]
	v_add_f64 v[2:3], v[8:9], -v[236:237]
	v_accvgpr_read_b32 v8, a34
	v_accvgpr_read_b32 v9, a35
	v_add_f64 v[8:9], v[8:9], -v[138:139]
	v_add_f64 v[6:7], v[250:251], -v[88:89]
	v_add_f64 v[8:9], v[60:61], v[8:9]
	v_add_f64 v[4:5], v[140:141], -v[92:93]
	v_add_f64 v[6:7], v[6:7], v[8:9]
	v_add_f64 v[4:5], v[4:5], v[6:7]
	v_add_f64 v[0:1], v[178:179], -v[160:161]
	v_add_f64 v[2:3], v[2:3], v[4:5]
	v_add_f64 v[100:101], v[0:1], v[2:3]
	;; [unrolled: 1-line block ×12, first 2 shown]
	v_accvgpr_read_b32 v0, a22
	v_accvgpr_read_b32 v1, a23
	;; [unrolled: 1-line block ×3, first 2 shown]
	v_add_f64 v[0:1], v[60:61], v[0:1]
	v_accvgpr_read_b32 v3, a25
	v_add_f64 v[0:1], v[0:1], v[2:3]
	v_accvgpr_read_b32 v2, a26
	v_accvgpr_read_b32 v3, a27
	v_add_f64 v[0:1], v[0:1], v[2:3]
	v_accvgpr_read_b32 v2, a28
	;; [unrolled: 3-line block ×5, first 2 shown]
	v_add_f64 v[0:1], v[0:1], v[238:239]
	v_accvgpr_read_b32 v3, a31
	v_add_f64 v[0:1], v[0:1], v[2:3]
	v_accvgpr_read_b32 v2, a38
	v_accvgpr_read_b32 v3, a39
	v_add_f64 v[0:1], v[0:1], v[2:3]
	v_accvgpr_read_b32 v2, a20
	v_mul_f64 v[192:193], v[192:193], s[10:11]
	v_add_f64 v[172:173], v[230:231], v[172:173]
	v_mov_b32_e32 v236, v107
	v_accvgpr_read_b32 v3, a21
	v_add_f64 v[192:193], v[232:233], v[192:193]
	v_add_f64 v[148:149], v[172:173], v[148:149]
	;; [unrolled: 1-line block ×3, first 2 shown]
	v_lshl_add_u32 v0, v105, 4, v236
	v_add_f64 v[148:149], v[192:193], v[148:149]
	ds_write_b128 v234, v[60:63]
	ds_write_b128 v0, v[100:103] offset:80
	ds_write_b128 v0, v[156:159] offset:160
	;; [unrolled: 1-line block ×10, first 2 shown]
.LBB0_5:
	s_or_b64 exec, exec, s[12:13]
	s_waitcnt lgkmcnt(0)
	s_barrier
	global_load_dwordx4 v[60:63], v[164:165], off offset:880
	s_add_u32 s2, s8, 0x370
	s_addc_u32 s3, s9, 0
	global_load_dwordx4 v[88:91], v106, s[2:3] offset:176
	global_load_dwordx4 v[92:95], v106, s[2:3] offset:352
	;; [unrolled: 1-line block ×4, first 2 shown]
	ds_read_b128 v[106:109], v234
	ds_read_b128 v[110:113], v234 offset:176
	ds_read_b128 v[114:117], v234 offset:352
	;; [unrolled: 1-line block ×4, first 2 shown]
	s_mov_b32 s8, 0x134454ff
	s_mov_b32 s9, 0xbfee6f0e
	;; [unrolled: 1-line block ×10, first 2 shown]
	s_waitcnt vmcnt(4) lgkmcnt(4)
	v_mul_f64 v[0:1], v[108:109], v[62:63]
	v_mul_f64 v[128:129], v[106:107], v[62:63]
	v_fma_f64 v[126:127], v[106:107], v[60:61], -v[0:1]
	s_waitcnt vmcnt(3) lgkmcnt(3)
	v_mul_f64 v[0:1], v[112:113], v[90:91]
	v_mul_f64 v[62:63], v[110:111], v[90:91]
	s_waitcnt vmcnt(2) lgkmcnt(2)
	v_mul_f64 v[2:3], v[116:117], v[94:95]
	v_mul_f64 v[90:91], v[114:115], v[94:95]
	;; [unrolled: 3-line block ×3, first 2 shown]
	v_fmac_f64_e32 v[128:129], v[108:109], v[60:61]
	s_waitcnt vmcnt(0) lgkmcnt(0)
	v_mul_f64 v[6:7], v[124:125], v[102:103]
	v_mul_f64 v[98:99], v[122:123], v[102:103]
	v_fma_f64 v[60:61], v[110:111], v[88:89], -v[0:1]
	v_fmac_f64_e32 v[62:63], v[112:113], v[88:89]
	v_fma_f64 v[88:89], v[114:115], v[92:93], -v[2:3]
	v_fmac_f64_e32 v[90:91], v[116:117], v[92:93]
	v_fma_f64 v[92:93], v[118:119], v[96:97], -v[4:5]
	v_fmac_f64_e32 v[94:95], v[120:121], v[96:97]
	ds_write_b128 v234, v[126:129]
	v_fma_f64 v[96:97], v[122:123], v[100:101], -v[6:7]
	v_fmac_f64_e32 v[98:99], v[124:125], v[100:101]
	ds_write_b128 v234, v[60:63] offset:176
	ds_write_b128 v234, v[88:91] offset:352
	;; [unrolled: 1-line block ×4, first 2 shown]
	s_waitcnt lgkmcnt(0)
	s_barrier
	ds_read_b128 v[92:95], v234
	ds_read_b128 v[106:109], v234 offset:176
	ds_read_b128 v[110:113], v234 offset:352
	;; [unrolled: 1-line block ×4, first 2 shown]
	s_waitcnt lgkmcnt(0)
	v_add_f64 v[0:1], v[92:93], v[106:107]
	v_add_f64 v[8:9], v[106:107], -v[110:111]
	v_add_f64 v[2:3], v[110:111], v[114:115]
	v_add_f64 v[4:5], v[108:109], -v[120:121]
	v_add_f64 v[12:13], v[106:107], v[118:119]
	v_fma_f64 v[100:101], -0.5, v[2:3], v[92:93]
	v_add_f64 v[6:7], v[112:113], -v[116:117]
	v_add_f64 v[10:11], v[118:119], -v[114:115]
	v_add_f64 v[60:61], v[112:113], v[116:117]
	v_add_f64 v[0:1], v[0:1], v[110:111]
	v_fmac_f64_e32 v[92:93], -0.5, v[12:13]
	v_fma_f64 v[88:89], s[8:9], v[4:5], v[100:101]
	v_fmac_f64_e32 v[100:101], s[12:13], v[4:5]
	v_add_f64 v[14:15], v[110:111], -v[106:107]
	v_add_f64 v[106:107], v[106:107], -v[118:119]
	v_add_f64 v[2:3], v[8:9], v[10:11]
	v_fma_f64 v[102:103], -0.5, v[60:61], v[94:95]
	v_add_f64 v[0:1], v[0:1], v[114:115]
	v_fma_f64 v[96:97], s[12:13], v[6:7], v[92:93]
	v_fmac_f64_e32 v[92:93], s[8:9], v[6:7]
	v_fmac_f64_e32 v[88:89], s[2:3], v[6:7]
	;; [unrolled: 1-line block ×3, first 2 shown]
	v_fma_f64 v[90:91], s[12:13], v[106:107], v[102:103]
	v_add_f64 v[60:61], v[0:1], v[118:119]
	v_fmac_f64_e32 v[96:97], s[2:3], v[4:5]
	v_fmac_f64_e32 v[92:93], s[14:15], v[4:5]
	;; [unrolled: 1-line block ×4, first 2 shown]
	v_add_f64 v[0:1], v[110:111], -v[114:115]
	v_add_f64 v[2:3], v[108:109], -v[112:113]
	;; [unrolled: 1-line block ×3, first 2 shown]
	v_fmac_f64_e32 v[102:103], s[8:9], v[106:107]
	v_fmac_f64_e32 v[90:91], s[14:15], v[0:1]
	v_add_f64 v[2:3], v[2:3], v[4:5]
	v_fmac_f64_e32 v[102:103], s[2:3], v[0:1]
	v_fmac_f64_e32 v[90:91], s[10:11], v[2:3]
	;; [unrolled: 1-line block ×3, first 2 shown]
	v_add_f64 v[2:3], v[108:109], v[120:121]
	v_add_f64 v[18:19], v[94:95], v[108:109]
	v_fmac_f64_e32 v[94:95], -0.5, v[2:3]
	v_add_f64 v[16:17], v[114:115], -v[118:119]
	v_add_f64 v[10:11], v[18:19], v[112:113]
	v_fma_f64 v[98:99], s[8:9], v[0:1], v[94:95]
	v_add_f64 v[2:3], v[112:113], -v[108:109]
	v_add_f64 v[4:5], v[116:117], -v[120:121]
	v_fmac_f64_e32 v[94:95], s[12:13], v[0:1]
	v_add_f64 v[8:9], v[14:15], v[16:17]
	v_add_f64 v[10:11], v[10:11], v[116:117]
	v_fmac_f64_e32 v[98:99], s[14:15], v[106:107]
	v_add_f64 v[2:3], v[2:3], v[4:5]
	v_fmac_f64_e32 v[94:95], s[2:3], v[106:107]
	;; [unrolled: 2-line block ×3, first 2 shown]
	v_fmac_f64_e32 v[92:93], s[10:11], v[8:9]
	v_fmac_f64_e32 v[98:99], s[10:11], v[2:3]
	v_fmac_f64_e32 v[94:95], s[10:11], v[2:3]
	s_barrier
	ds_write_b128 v235, v[60:63]
	ds_write_b128 v235, v[88:91] offset:16
	ds_write_b128 v235, v[96:99] offset:32
	;; [unrolled: 1-line block ×4, first 2 shown]
	s_waitcnt lgkmcnt(0)
	s_barrier
	s_and_saveexec_b64 s[2:3], vcc
	s_cbranch_execz .LBB0_7
; %bb.6:
	ds_read_b128 v[60:63], v234
	ds_read_b128 v[88:91], v234 offset:80
	ds_read_b128 v[96:99], v234 offset:160
	;; [unrolled: 1-line block ×10, first 2 shown]
.LBB0_7:
	s_or_b64 exec, exec, s[2:3]
	s_and_saveexec_b64 s[2:3], vcc
	s_cbranch_execz .LBB0_9
; %bb.8:
	s_waitcnt lgkmcnt(5)
	v_mul_f64 v[106:107], v[50:51], v[82:83]
	v_mul_f64 v[2:3], v[50:51], v[80:81]
	;; [unrolled: 1-line block ×3, first 2 shown]
	v_fmac_f64_e32 v[106:107], v[48:49], v[80:81]
	v_fma_f64 v[80:81], v[48:49], v[82:83], -v[2:3]
	s_waitcnt lgkmcnt(3)
	v_mul_f64 v[50:51], v[54:55], v[78:79]
	v_fma_f64 v[82:83], v[32:33], v[102:103], -v[6:7]
	v_mul_f64 v[6:7], v[54:55], v[76:77]
	v_mul_f64 v[10:11], v[30:31], v[92:93]
	v_fmac_f64_e32 v[50:51], v[52:53], v[76:77]
	v_fma_f64 v[54:55], v[52:53], v[78:79], -v[6:7]
	s_waitcnt lgkmcnt(2)
	v_mul_f64 v[52:53], v[46:47], v[74:75]
	v_fma_f64 v[76:77], v[28:29], v[94:95], -v[10:11]
	v_mul_f64 v[10:11], v[46:47], v[72:73]
	v_mul_f64 v[14:15], v[26:27], v[96:97]
	v_fmac_f64_e32 v[52:53], v[44:45], v[72:73]
	v_fma_f64 v[46:47], v[44:45], v[74:75], -v[10:11]
	s_waitcnt lgkmcnt(1)
	v_mul_f64 v[44:45], v[42:43], v[70:71]
	v_fma_f64 v[74:75], v[24:25], v[98:99], -v[14:15]
	v_mul_f64 v[14:15], v[42:43], v[68:69]
	v_fmac_f64_e32 v[44:45], v[40:41], v[68:69]
	v_fma_f64 v[42:43], v[40:41], v[70:71], -v[14:15]
	v_mul_f64 v[68:69], v[22:23], v[90:91]
	s_waitcnt lgkmcnt(0)
	v_mul_f64 v[40:41], v[38:39], v[66:67]
	v_mul_f64 v[18:19], v[22:23], v[88:89]
	;; [unrolled: 1-line block ×3, first 2 shown]
	v_fmac_f64_e32 v[68:69], v[20:21], v[88:89]
	v_fmac_f64_e32 v[40:41], v[36:37], v[64:65]
	s_mov_b32 s24, 0xfd768dbf
	v_fma_f64 v[70:71], v[20:21], v[90:91], -v[18:19]
	v_mul_f64 v[18:19], v[38:39], v[64:65]
	v_mul_f64 v[108:109], v[58:59], v[86:87]
	;; [unrolled: 1-line block ×4, first 2 shown]
	v_fmac_f64_e32 v[72:73], v[24:25], v[96:97]
	s_mov_b32 s26, 0xf8bb580b
	v_add_f64 v[98:99], v[68:69], -v[40:41]
	s_mov_b32 s25, 0xbfd207e7
	v_fma_f64 v[36:37], v[36:37], v[66:67], -v[18:19]
	v_mul_f64 v[48:49], v[34:35], v[102:103]
	v_fmac_f64_e32 v[58:59], v[28:29], v[92:93]
	s_mov_b32 s20, 0xbb3a28a1
	v_add_f64 v[102:103], v[72:73], -v[44:45]
	s_mov_b32 s27, 0x3fe14ced
	s_mov_b32 s18, 0x8764f0ba
	v_mul_f64 v[16:17], v[98:99], s[24:25]
	v_add_f64 v[38:39], v[70:71], v[36:37]
	v_fmac_f64_e32 v[48:49], v[32:33], v[100:101]
	v_add_f64 v[100:101], v[58:59], -v[52:53]
	s_mov_b32 s21, 0xbfe82f19
	s_mov_b32 s16, 0x7f775887
	v_mul_f64 v[12:13], v[102:103], s[26:27]
	v_add_f64 v[94:95], v[74:75], v[42:43]
	s_mov_b32 s19, 0x3feaeb8c
	v_fma_f64 v[18:19], s[22:23], v[38:39], v[16:17]
	v_add_f64 v[120:121], v[70:71], -v[36:37]
	v_fmac_f64_e32 v[108:109], v[56:57], v[84:85]
	s_mov_b32 s10, 0x43842ef
	v_fma_f64 v[56:57], v[56:57], v[86:87], -v[2:3]
	v_add_f64 v[86:87], v[48:49], -v[50:51]
	s_mov_b32 s15, 0x3fed1bb4
	s_mov_b32 s14, 0x8eee2c13
	;; [unrolled: 1-line block ×3, first 2 shown]
	v_mul_f64 v[8:9], v[100:101], s[20:21]
	v_add_f64 v[92:93], v[76:77], v[46:47]
	s_mov_b32 s17, 0xbfe4f49e
	v_fma_f64 v[14:15], s[18:19], v[94:95], v[12:13]
	v_add_f64 v[18:19], v[62:63], v[18:19]
	v_add_f64 v[118:119], v[74:75], -v[42:43]
	v_add_f64 v[96:97], v[68:69], v[40:41]
	v_mul_f64 v[28:29], v[120:121], s[24:25]
	v_add_f64 v[110:111], v[106:107], -v[108:109]
	s_mov_b32 s11, 0xbfefac9e
	s_mov_b32 s8, 0x640f44db
	v_mul_f64 v[4:5], v[86:87], s[14:15]
	v_add_f64 v[78:79], v[82:83], v[54:55]
	s_mov_b32 s13, 0x3fda9628
	v_fma_f64 v[10:11], s[16:17], v[92:93], v[8:9]
	v_add_f64 v[14:15], v[14:15], v[18:19]
	v_add_f64 v[116:117], v[76:77], -v[46:47]
	v_add_f64 v[90:91], v[72:73], v[44:45]
	v_mul_f64 v[24:25], v[118:119], s[26:27]
	v_fma_f64 v[30:31], v[96:97], s[22:23], -v[28:29]
	v_mul_f64 v[0:1], v[110:111], s[10:11]
	v_add_f64 v[84:85], v[80:81], v[56:57]
	s_mov_b32 s9, 0xbfc2375f
	v_fma_f64 v[6:7], s[12:13], v[78:79], v[4:5]
	v_add_f64 v[10:11], v[10:11], v[14:15]
	v_add_f64 v[114:115], v[82:83], -v[54:55]
	v_add_f64 v[88:89], v[58:59], v[52:53]
	v_mul_f64 v[18:19], v[116:117], s[20:21]
	v_fma_f64 v[26:27], v[90:91], s[18:19], -v[24:25]
	v_add_f64 v[30:31], v[60:61], v[30:31]
	v_fma_f64 v[2:3], s[8:9], v[84:85], v[0:1]
	v_add_f64 v[6:7], v[6:7], v[10:11]
	v_add_f64 v[112:113], v[80:81], -v[56:57]
	v_add_f64 v[66:67], v[48:49], v[50:51]
	v_mul_f64 v[10:11], v[114:115], s[14:15]
	v_fma_f64 v[20:21], v[88:89], s[16:17], -v[18:19]
	v_add_f64 v[26:27], v[26:27], v[30:31]
	v_add_f64 v[22:23], v[2:3], v[6:7]
	;; [unrolled: 1-line block ×3, first 2 shown]
	v_mul_f64 v[2:3], v[112:113], s[10:11]
	v_fma_f64 v[14:15], v[66:67], s[12:13], -v[10:11]
	v_add_f64 v[20:21], v[20:21], v[26:27]
	v_fma_f64 v[6:7], v[64:65], s[8:9], -v[2:3]
	v_add_f64 v[14:15], v[14:15], v[20:21]
	v_add_f64 v[20:21], v[6:7], v[14:15]
	v_fma_f64 v[6:7], v[92:93], s[16:17], -v[8:9]
	v_fma_f64 v[8:9], v[94:95], s[18:19], -v[12:13]
	;; [unrolled: 1-line block ×3, first 2 shown]
	v_add_f64 v[12:13], v[62:63], v[12:13]
	v_add_f64 v[8:9], v[8:9], v[12:13]
	v_fma_f64 v[4:5], v[78:79], s[12:13], -v[4:5]
	v_add_f64 v[6:7], v[6:7], v[8:9]
	v_fma_f64 v[0:1], v[84:85], s[8:9], -v[0:1]
	v_add_f64 v[4:5], v[4:5], v[6:7]
	v_fmac_f64_e32 v[28:29], s[22:23], v[96:97]
	v_add_f64 v[26:27], v[0:1], v[4:5]
	v_fmac_f64_e32 v[24:25], s[18:19], v[90:91]
	;; [unrolled: 2-line block ×3, first 2 shown]
	v_add_f64 v[0:1], v[24:25], v[0:1]
	s_mov_b32 s30, s10
	v_mul_f64 v[16:17], v[98:99], s[20:21]
	v_add_f64 v[0:1], v[18:19], v[0:1]
	s_mov_b32 s29, 0xbfe14ced
	s_mov_b32 s28, s26
	v_mul_f64 v[12:13], v[102:103], s[30:31]
	v_fma_f64 v[18:19], s[16:17], v[38:39], v[16:17]
	v_fmac_f64_e32 v[10:11], s[12:13], v[66:67]
	v_mul_f64 v[8:9], v[100:101], s[28:29]
	v_fma_f64 v[14:15], s[8:9], v[94:95], v[12:13]
	v_add_f64 v[18:19], v[62:63], v[18:19]
	v_mul_f64 v[122:123], v[120:121], s[20:21]
	v_fmac_f64_e32 v[2:3], s[8:9], v[64:65]
	v_add_f64 v[0:1], v[10:11], v[0:1]
	v_mul_f64 v[4:5], v[86:87], s[24:25]
	v_fma_f64 v[10:11], s[18:19], v[92:93], v[8:9]
	v_add_f64 v[14:15], v[14:15], v[18:19]
	v_mul_f64 v[32:33], v[118:119], s[30:31]
	v_fma_f64 v[124:125], v[96:97], s[16:17], -v[122:123]
	v_add_f64 v[24:25], v[2:3], v[0:1]
	v_mul_f64 v[0:1], v[110:111], s[14:15]
	v_fma_f64 v[6:7], s[22:23], v[78:79], v[4:5]
	v_add_f64 v[10:11], v[10:11], v[14:15]
	v_mul_f64 v[18:19], v[116:117], s[28:29]
	v_fma_f64 v[34:35], v[90:91], s[8:9], -v[32:33]
	v_add_f64 v[124:125], v[60:61], v[124:125]
	v_fma_f64 v[2:3], s[12:13], v[84:85], v[0:1]
	v_add_f64 v[6:7], v[6:7], v[10:11]
	v_mul_f64 v[10:11], v[114:115], s[24:25]
	v_fma_f64 v[28:29], v[88:89], s[18:19], -v[18:19]
	v_add_f64 v[34:35], v[34:35], v[124:125]
	v_add_f64 v[30:31], v[2:3], v[6:7]
	v_mul_f64 v[2:3], v[112:113], s[14:15]
	v_fma_f64 v[14:15], v[66:67], s[22:23], -v[10:11]
	v_add_f64 v[28:29], v[28:29], v[34:35]
	v_fma_f64 v[6:7], v[64:65], s[12:13], -v[2:3]
	v_add_f64 v[14:15], v[14:15], v[28:29]
	v_add_f64 v[28:29], v[6:7], v[14:15]
	v_fma_f64 v[6:7], v[92:93], s[18:19], -v[8:9]
	v_fma_f64 v[8:9], v[94:95], s[8:9], -v[12:13]
	;; [unrolled: 1-line block ×3, first 2 shown]
	v_add_f64 v[12:13], v[62:63], v[12:13]
	v_add_f64 v[8:9], v[8:9], v[12:13]
	v_fma_f64 v[4:5], v[78:79], s[22:23], -v[4:5]
	v_add_f64 v[6:7], v[6:7], v[8:9]
	v_fma_f64 v[0:1], v[84:85], s[12:13], -v[0:1]
	v_add_f64 v[4:5], v[4:5], v[6:7]
	v_fmac_f64_e32 v[122:123], s[16:17], v[96:97]
	v_add_f64 v[34:35], v[0:1], v[4:5]
	v_fmac_f64_e32 v[32:33], s[8:9], v[90:91]
	;; [unrolled: 2-line block ×3, first 2 shown]
	v_add_f64 v[0:1], v[32:33], v[0:1]
	s_mov_b32 s35, 0x3fd207e7
	s_mov_b32 s34, s24
	v_mul_f64 v[16:17], v[98:99], s[10:11]
	v_add_f64 v[0:1], v[18:19], v[0:1]
	v_mul_f64 v[12:13], v[102:103], s[34:35]
	v_fma_f64 v[18:19], s[8:9], v[38:39], v[16:17]
	v_fmac_f64_e32 v[10:11], s[22:23], v[66:67]
	v_mul_f64 v[8:9], v[100:101], s[14:15]
	v_fma_f64 v[14:15], s[22:23], v[94:95], v[12:13]
	v_add_f64 v[18:19], v[62:63], v[18:19]
	v_mul_f64 v[130:131], v[120:121], s[10:11]
	v_fmac_f64_e32 v[2:3], s[12:13], v[64:65]
	v_add_f64 v[0:1], v[10:11], v[0:1]
	v_mul_f64 v[4:5], v[86:87], s[28:29]
	v_fma_f64 v[10:11], s[12:13], v[92:93], v[8:9]
	v_add_f64 v[14:15], v[14:15], v[18:19]
	v_mul_f64 v[126:127], v[118:119], s[34:35]
	v_fma_f64 v[132:133], v[96:97], s[8:9], -v[130:131]
	v_add_f64 v[32:33], v[2:3], v[0:1]
	v_mul_f64 v[0:1], v[110:111], s[20:21]
	v_fma_f64 v[6:7], s[18:19], v[78:79], v[4:5]
	v_add_f64 v[10:11], v[10:11], v[14:15]
	v_mul_f64 v[18:19], v[116:117], s[14:15]
	v_fma_f64 v[128:129], v[90:91], s[22:23], -v[126:127]
	v_add_f64 v[132:133], v[60:61], v[132:133]
	v_fma_f64 v[2:3], s[16:17], v[84:85], v[0:1]
	v_add_f64 v[6:7], v[6:7], v[10:11]
	v_mul_f64 v[10:11], v[114:115], s[28:29]
	v_fma_f64 v[122:123], v[88:89], s[12:13], -v[18:19]
	v_add_f64 v[128:129], v[128:129], v[132:133]
	v_add_f64 v[124:125], v[2:3], v[6:7]
	v_mul_f64 v[2:3], v[112:113], s[20:21]
	v_fma_f64 v[14:15], v[66:67], s[18:19], -v[10:11]
	v_add_f64 v[122:123], v[122:123], v[128:129]
	v_fma_f64 v[6:7], v[64:65], s[16:17], -v[2:3]
	v_add_f64 v[14:15], v[14:15], v[122:123]
	v_add_f64 v[122:123], v[6:7], v[14:15]
	v_fma_f64 v[6:7], v[92:93], s[12:13], -v[8:9]
	v_fma_f64 v[8:9], v[94:95], s[22:23], -v[12:13]
	;; [unrolled: 1-line block ×3, first 2 shown]
	v_add_f64 v[12:13], v[62:63], v[12:13]
	v_add_f64 v[8:9], v[8:9], v[12:13]
	v_fma_f64 v[4:5], v[78:79], s[18:19], -v[4:5]
	v_add_f64 v[6:7], v[6:7], v[8:9]
	v_fma_f64 v[0:1], v[84:85], s[16:17], -v[0:1]
	v_add_f64 v[4:5], v[4:5], v[6:7]
	v_fmac_f64_e32 v[130:131], s[8:9], v[96:97]
	v_add_f64 v[128:129], v[0:1], v[4:5]
	v_fmac_f64_e32 v[126:127], s[22:23], v[90:91]
	v_add_f64 v[0:1], v[60:61], v[130:131]
	s_mov_b32 s15, 0xbfed1bb4
	v_fmac_f64_e32 v[18:19], s[12:13], v[88:89]
	v_add_f64 v[0:1], v[126:127], v[0:1]
	v_mul_f64 v[16:17], v[98:99], s[14:15]
	v_add_f64 v[0:1], v[18:19], v[0:1]
	v_mul_f64 v[12:13], v[102:103], s[20:21]
	v_fma_f64 v[18:19], s[12:13], v[38:39], v[16:17]
	v_fmac_f64_e32 v[10:11], s[18:19], v[66:67]
	v_mul_f64 v[8:9], v[100:101], s[34:35]
	v_fma_f64 v[14:15], s[16:17], v[94:95], v[12:13]
	v_add_f64 v[18:19], v[62:63], v[18:19]
	v_mul_f64 v[138:139], v[120:121], s[14:15]
	v_fmac_f64_e32 v[2:3], s[16:17], v[64:65]
	v_add_f64 v[0:1], v[10:11], v[0:1]
	v_mul_f64 v[4:5], v[86:87], s[30:31]
	v_fma_f64 v[10:11], s[22:23], v[92:93], v[8:9]
	v_add_f64 v[14:15], v[14:15], v[18:19]
	v_mul_f64 v[134:135], v[118:119], s[20:21]
	v_fma_f64 v[140:141], v[96:97], s[12:13], -v[138:139]
	v_add_f64 v[126:127], v[2:3], v[0:1]
	v_mul_f64 v[0:1], v[110:111], s[26:27]
	v_fma_f64 v[6:7], s[8:9], v[78:79], v[4:5]
	v_add_f64 v[10:11], v[10:11], v[14:15]
	v_mul_f64 v[18:19], v[116:117], s[34:35]
	v_fma_f64 v[136:137], v[90:91], s[16:17], -v[134:135]
	v_add_f64 v[140:141], v[60:61], v[140:141]
	v_fma_f64 v[2:3], s[18:19], v[84:85], v[0:1]
	v_add_f64 v[6:7], v[6:7], v[10:11]
	v_mul_f64 v[10:11], v[114:115], s[30:31]
	v_fma_f64 v[130:131], v[88:89], s[22:23], -v[18:19]
	v_add_f64 v[136:137], v[136:137], v[140:141]
	v_add_f64 v[132:133], v[2:3], v[6:7]
	v_mul_f64 v[2:3], v[112:113], s[26:27]
	v_fma_f64 v[14:15], v[66:67], s[8:9], -v[10:11]
	v_add_f64 v[130:131], v[130:131], v[136:137]
	v_fma_f64 v[6:7], v[64:65], s[18:19], -v[2:3]
	v_add_f64 v[14:15], v[14:15], v[130:131]
	v_add_f64 v[130:131], v[6:7], v[14:15]
	v_fma_f64 v[6:7], v[92:93], s[22:23], -v[8:9]
	v_fma_f64 v[8:9], v[94:95], s[16:17], -v[12:13]
	;; [unrolled: 1-line block ×3, first 2 shown]
	v_add_f64 v[12:13], v[62:63], v[12:13]
	v_add_f64 v[8:9], v[8:9], v[12:13]
	v_fma_f64 v[4:5], v[78:79], s[8:9], -v[4:5]
	v_add_f64 v[6:7], v[6:7], v[8:9]
	v_fma_f64 v[0:1], v[84:85], s[18:19], -v[0:1]
	v_add_f64 v[4:5], v[4:5], v[6:7]
	v_fmac_f64_e32 v[138:139], s[12:13], v[96:97]
	v_add_f64 v[136:137], v[0:1], v[4:5]
	v_fmac_f64_e32 v[134:135], s[16:17], v[90:91]
	;; [unrolled: 2-line block ×3, first 2 shown]
	v_add_f64 v[0:1], v[134:135], v[0:1]
	v_mul_f64 v[16:17], v[98:99], s[28:29]
	v_add_f64 v[0:1], v[18:19], v[0:1]
	v_mul_f64 v[12:13], v[102:103], s[14:15]
	v_fma_f64 v[18:19], s[18:19], v[38:39], v[16:17]
	v_fmac_f64_e32 v[10:11], s[8:9], v[66:67]
	v_mul_f64 v[8:9], v[100:101], s[10:11]
	v_fma_f64 v[14:15], s[12:13], v[94:95], v[12:13]
	v_add_f64 v[18:19], v[62:63], v[18:19]
	v_fmac_f64_e32 v[2:3], s[18:19], v[64:65]
	v_add_f64 v[0:1], v[10:11], v[0:1]
	v_mul_f64 v[4:5], v[86:87], s[20:21]
	v_fma_f64 v[10:11], s[8:9], v[92:93], v[8:9]
	v_add_f64 v[14:15], v[14:15], v[18:19]
	v_add_f64 v[134:135], v[2:3], v[0:1]
	v_mul_f64 v[0:1], v[110:111], s[24:25]
	v_fma_f64 v[6:7], s[16:17], v[78:79], v[4:5]
	v_add_f64 v[10:11], v[10:11], v[14:15]
	v_fma_f64 v[2:3], s[22:23], v[84:85], v[0:1]
	v_add_f64 v[6:7], v[6:7], v[10:11]
	v_mul_f64 v[110:111], v[120:121], s[28:29]
	v_add_f64 v[100:101], v[2:3], v[6:7]
	v_mul_f64 v[2:3], v[112:113], s[24:25]
	v_mul_f64 v[102:103], v[118:119], s[14:15]
	v_fma_f64 v[112:113], v[96:97], s[18:19], -v[110:111]
	v_mul_f64 v[18:19], v[116:117], s[10:11]
	v_fma_f64 v[98:99], v[90:91], s[12:13], -v[102:103]
	v_add_f64 v[112:113], v[60:61], v[112:113]
	v_mul_f64 v[10:11], v[114:115], s[20:21]
	v_fma_f64 v[86:87], v[88:89], s[8:9], -v[18:19]
	v_add_f64 v[98:99], v[98:99], v[112:113]
	v_fma_f64 v[14:15], v[66:67], s[16:17], -v[10:11]
	v_add_f64 v[86:87], v[86:87], v[98:99]
	;; [unrolled: 2-line block ×3, first 2 shown]
	v_add_f64 v[98:99], v[6:7], v[14:15]
	v_fma_f64 v[6:7], v[92:93], s[8:9], -v[8:9]
	v_fma_f64 v[8:9], v[94:95], s[12:13], -v[12:13]
	;; [unrolled: 1-line block ×3, first 2 shown]
	v_add_f64 v[12:13], v[62:63], v[12:13]
	v_add_f64 v[8:9], v[8:9], v[12:13]
	v_fma_f64 v[4:5], v[78:79], s[16:17], -v[4:5]
	v_add_f64 v[6:7], v[6:7], v[8:9]
	v_fma_f64 v[0:1], v[84:85], s[22:23], -v[0:1]
	v_add_f64 v[4:5], v[4:5], v[6:7]
	v_fmac_f64_e32 v[110:111], s[18:19], v[96:97]
	v_add_f64 v[86:87], v[0:1], v[4:5]
	v_fmac_f64_e32 v[102:103], s[12:13], v[90:91]
	;; [unrolled: 2-line block ×5, first 2 shown]
	v_add_f64 v[0:1], v[10:11], v[0:1]
	v_add_f64 v[84:85], v[2:3], v[0:1]
	;; [unrolled: 1-line block ×22, first 2 shown]
	v_lshl_add_u32 v0, v105, 4, v236
	ds_write_b128 v234, v[36:39]
	ds_write_b128 v0, v[84:87] offset:80
	ds_write_b128 v0, v[134:137] offset:160
	;; [unrolled: 1-line block ×10, first 2 shown]
.LBB0_9:
	s_or_b64 exec, exec, s[2:3]
	s_waitcnt lgkmcnt(0)
	s_barrier
	ds_read_b128 v[20:23], v234
	ds_read_b128 v[24:27], v234 offset:176
	v_mov_b32_e32 v0, s0
	v_mov_b32_e32 v1, s1
	v_mad_u64_u32 v[2:3], s[0:1], s6, v104, 0
	v_mov_b32_e32 v4, v3
	v_accvgpr_read_b32 v6, a16
	v_mad_u64_u32 v[4:5], s[0:1], s7, v104, v[4:5]
	v_accvgpr_read_b32 v8, a18
	v_accvgpr_read_b32 v9, a19
	v_mov_b32_e32 v3, v4
	v_accvgpr_read_b32 v7, a17
	s_waitcnt lgkmcnt(1)
	v_mul_f64 v[4:5], v[8:9], v[22:23]
	s_mov_b32 s0, 0x29e4129e
	v_fmac_f64_e32 v[4:5], v[6:7], v[20:21]
	s_mov_b32 s1, 0x3f929e41
	v_mul_f64 v[28:29], v[4:5], s[0:1]
	v_mul_f64 v[4:5], v[8:9], v[20:21]
	v_fma_f64 v[4:5], v[6:7], v[22:23], -v[4:5]
	v_mul_f64 v[30:31], v[4:5], s[0:1]
	v_mad_u64_u32 v[4:5], s[2:3], s4, v105, 0
	v_mov_b32_e32 v6, v5
	v_mad_u64_u32 v[6:7], s[2:3], s5, v105, v[6:7]
	v_mov_b32_e32 v5, v6
	v_lshl_add_u64 v[0:1], v[2:3], 4, v[0:1]
	v_lshl_add_u64 v[0:1], v[4:5], 4, v[0:1]
	v_accvgpr_read_b32 v4, a8
	v_accvgpr_read_b32 v6, a10
	;; [unrolled: 1-line block ×4, first 2 shown]
	s_waitcnt lgkmcnt(0)
	v_mul_f64 v[2:3], v[6:7], v[26:27]
	ds_read_b128 v[8:11], v234 offset:352
	v_fmac_f64_e32 v[2:3], v[4:5], v[24:25]
	v_mul_f64 v[16:17], v[2:3], s[0:1]
	v_mul_f64 v[2:3], v[6:7], v[24:25]
	v_mov_b32_e32 v6, 0xb0
	global_store_dwordx4 v[0:1], v[28:31], off
	v_fma_f64 v[2:3], v[4:5], v[26:27], -v[2:3]
	v_mad_u64_u32 v[0:1], s[2:3], s4, v6, v[0:1]
	s_mulk_i32 s5, 0xb0
	v_accvgpr_read_b32 v15, a3
	v_mul_f64 v[18:19], v[2:3], s[0:1]
	v_add_u32_e32 v1, s5, v1
	v_accvgpr_read_b32 v14, a2
	global_store_dwordx4 v[0:1], v[16:19], off
	ds_read_b128 v[16:19], v234 offset:528
	v_accvgpr_read_b32 v13, a1
	v_accvgpr_read_b32 v12, a0
	s_waitcnt lgkmcnt(1)
	v_mul_f64 v[2:3], v[14:15], v[10:11]
	v_fmac_f64_e32 v[2:3], v[12:13], v[8:9]
	v_mul_f64 v[20:21], v[2:3], s[0:1]
	v_mul_f64 v[2:3], v[14:15], v[8:9]
	v_fma_f64 v[2:3], v[12:13], v[10:11], -v[2:3]
	v_accvgpr_read_b32 v8, a12
	v_accvgpr_read_b32 v10, a14
	;; [unrolled: 1-line block ×3, first 2 shown]
	v_mul_f64 v[22:23], v[2:3], s[0:1]
	v_mad_u64_u32 v[4:5], s[2:3], s4, v6, v[0:1]
	v_accvgpr_read_b32 v9, a13
	s_waitcnt lgkmcnt(0)
	v_mul_f64 v[0:1], v[10:11], v[18:19]
	v_mul_f64 v[2:3], v[10:11], v[16:17]
	v_fmac_f64_e32 v[0:1], v[8:9], v[16:17]
	v_fma_f64 v[2:3], v[8:9], v[18:19], -v[2:3]
	ds_read_b128 v[8:11], v234 offset:704
	v_add_u32_e32 v5, s5, v5
	global_store_dwordx4 v[4:5], v[20:23], off
	v_mad_u64_u32 v[4:5], s[2:3], s4, v6, v[4:5]
	v_accvgpr_read_b32 v15, a7
	v_mul_f64 v[0:1], v[0:1], s[0:1]
	v_mul_f64 v[2:3], v[2:3], s[0:1]
	v_add_u32_e32 v5, s5, v5
	v_accvgpr_read_b32 v14, a6
	global_store_dwordx4 v[4:5], v[0:3], off
	v_accvgpr_read_b32 v13, a5
	v_accvgpr_read_b32 v12, a4
	s_waitcnt lgkmcnt(0)
	v_mul_f64 v[0:1], v[14:15], v[10:11]
	v_mul_f64 v[2:3], v[14:15], v[8:9]
	v_fmac_f64_e32 v[0:1], v[12:13], v[8:9]
	v_fma_f64 v[2:3], v[12:13], v[10:11], -v[2:3]
	v_mul_f64 v[0:1], v[0:1], s[0:1]
	v_mul_f64 v[2:3], v[2:3], s[0:1]
	v_mad_u64_u32 v[4:5], s[0:1], s4, v6, v[4:5]
	v_add_u32_e32 v5, s5, v5
	global_store_dwordx4 v[4:5], v[0:3], off
.LBB0_10:
	s_endpgm
	.section	.rodata,"a",@progbits
	.p2align	6, 0x0
	.amdhsa_kernel bluestein_single_fwd_len55_dim1_dp_op_CI_CI
		.amdhsa_group_segment_fixed_size 20240
		.amdhsa_private_segment_fixed_size 0
		.amdhsa_kernarg_size 104
		.amdhsa_user_sgpr_count 2
		.amdhsa_user_sgpr_dispatch_ptr 0
		.amdhsa_user_sgpr_queue_ptr 0
		.amdhsa_user_sgpr_kernarg_segment_ptr 1
		.amdhsa_user_sgpr_dispatch_id 0
		.amdhsa_user_sgpr_kernarg_preload_length 0
		.amdhsa_user_sgpr_kernarg_preload_offset 0
		.amdhsa_user_sgpr_private_segment_size 0
		.amdhsa_uses_dynamic_stack 0
		.amdhsa_enable_private_segment 0
		.amdhsa_system_sgpr_workgroup_id_x 1
		.amdhsa_system_sgpr_workgroup_id_y 0
		.amdhsa_system_sgpr_workgroup_id_z 0
		.amdhsa_system_sgpr_workgroup_info 0
		.amdhsa_system_vgpr_workitem_id 0
		.amdhsa_next_free_vgpr 296
		.amdhsa_next_free_sgpr 36
		.amdhsa_accum_offset 256
		.amdhsa_reserve_vcc 1
		.amdhsa_float_round_mode_32 0
		.amdhsa_float_round_mode_16_64 0
		.amdhsa_float_denorm_mode_32 3
		.amdhsa_float_denorm_mode_16_64 3
		.amdhsa_dx10_clamp 1
		.amdhsa_ieee_mode 1
		.amdhsa_fp16_overflow 0
		.amdhsa_tg_split 0
		.amdhsa_exception_fp_ieee_invalid_op 0
		.amdhsa_exception_fp_denorm_src 0
		.amdhsa_exception_fp_ieee_div_zero 0
		.amdhsa_exception_fp_ieee_overflow 0
		.amdhsa_exception_fp_ieee_underflow 0
		.amdhsa_exception_fp_ieee_inexact 0
		.amdhsa_exception_int_div_zero 0
	.end_amdhsa_kernel
	.text
.Lfunc_end0:
	.size	bluestein_single_fwd_len55_dim1_dp_op_CI_CI, .Lfunc_end0-bluestein_single_fwd_len55_dim1_dp_op_CI_CI
                                        ; -- End function
	.section	.AMDGPU.csdata,"",@progbits
; Kernel info:
; codeLenInByte = 9504
; NumSgprs: 42
; NumVgprs: 256
; NumAgprs: 40
; TotalNumVgprs: 296
; ScratchSize: 0
; MemoryBound: 0
; FloatMode: 240
; IeeeMode: 1
; LDSByteSize: 20240 bytes/workgroup (compile time only)
; SGPRBlocks: 5
; VGPRBlocks: 36
; NumSGPRsForWavesPerEU: 42
; NumVGPRsForWavesPerEU: 296
; AccumOffset: 256
; Occupancy: 1
; WaveLimiterHint : 1
; COMPUTE_PGM_RSRC2:SCRATCH_EN: 0
; COMPUTE_PGM_RSRC2:USER_SGPR: 2
; COMPUTE_PGM_RSRC2:TRAP_HANDLER: 0
; COMPUTE_PGM_RSRC2:TGID_X_EN: 1
; COMPUTE_PGM_RSRC2:TGID_Y_EN: 0
; COMPUTE_PGM_RSRC2:TGID_Z_EN: 0
; COMPUTE_PGM_RSRC2:TIDIG_COMP_CNT: 0
; COMPUTE_PGM_RSRC3_GFX90A:ACCUM_OFFSET: 63
; COMPUTE_PGM_RSRC3_GFX90A:TG_SPLIT: 0
	.text
	.p2alignl 6, 3212836864
	.fill 256, 4, 3212836864
	.type	__hip_cuid_e8e7c786290b9fb6,@object ; @__hip_cuid_e8e7c786290b9fb6
	.section	.bss,"aw",@nobits
	.globl	__hip_cuid_e8e7c786290b9fb6
__hip_cuid_e8e7c786290b9fb6:
	.byte	0                               ; 0x0
	.size	__hip_cuid_e8e7c786290b9fb6, 1

	.ident	"AMD clang version 19.0.0git (https://github.com/RadeonOpenCompute/llvm-project roc-6.4.0 25133 c7fe45cf4b819c5991fe208aaa96edf142730f1d)"
	.section	".note.GNU-stack","",@progbits
	.addrsig
	.addrsig_sym __hip_cuid_e8e7c786290b9fb6
	.amdgpu_metadata
---
amdhsa.kernels:
  - .agpr_count:     40
    .args:
      - .actual_access:  read_only
        .address_space:  global
        .offset:         0
        .size:           8
        .value_kind:     global_buffer
      - .actual_access:  read_only
        .address_space:  global
        .offset:         8
        .size:           8
        .value_kind:     global_buffer
      - .actual_access:  read_only
        .address_space:  global
        .offset:         16
        .size:           8
        .value_kind:     global_buffer
      - .actual_access:  read_only
        .address_space:  global
        .offset:         24
        .size:           8
        .value_kind:     global_buffer
      - .actual_access:  read_only
        .address_space:  global
        .offset:         32
        .size:           8
        .value_kind:     global_buffer
      - .offset:         40
        .size:           8
        .value_kind:     by_value
      - .address_space:  global
        .offset:         48
        .size:           8
        .value_kind:     global_buffer
      - .address_space:  global
        .offset:         56
        .size:           8
        .value_kind:     global_buffer
      - .address_space:  global
        .offset:         64
        .size:           8
        .value_kind:     global_buffer
      - .address_space:  global
        .offset:         72
        .size:           8
        .value_kind:     global_buffer
      - .offset:         80
        .size:           4
        .value_kind:     by_value
      - .address_space:  global
        .offset:         88
        .size:           8
        .value_kind:     global_buffer
      - .address_space:  global
        .offset:         96
        .size:           8
        .value_kind:     global_buffer
    .group_segment_fixed_size: 20240
    .kernarg_segment_align: 8
    .kernarg_segment_size: 104
    .language:       OpenCL C
    .language_version:
      - 2
      - 0
    .max_flat_workgroup_size: 253
    .name:           bluestein_single_fwd_len55_dim1_dp_op_CI_CI
    .private_segment_fixed_size: 0
    .sgpr_count:     42
    .sgpr_spill_count: 0
    .symbol:         bluestein_single_fwd_len55_dim1_dp_op_CI_CI.kd
    .uniform_work_group_size: 1
    .uses_dynamic_stack: false
    .vgpr_count:     296
    .vgpr_spill_count: 0
    .wavefront_size: 64
amdhsa.target:   amdgcn-amd-amdhsa--gfx950
amdhsa.version:
  - 1
  - 2
...

	.end_amdgpu_metadata
